;; amdgpu-corpus repo=zjin-lcf/HeCBench kind=compiled arch=gfx1250 opt=O3
	.amdgcn_target "amdgcn-amd-amdhsa--gfx1250"
	.amdhsa_code_object_version 6
	.text
	.protected	_Z9initTablePyy         ; -- Begin function _Z9initTablePyy
	.globl	_Z9initTablePyy
	.p2align	8
	.type	_Z9initTablePyy,@function
_Z9initTablePyy:                        ; @_Z9initTablePyy
; %bb.0:
	s_clause 0x1
	s_load_b32 s2, s[0:1], 0x1c
	s_load_b128 s[4:7], s[0:1], 0x0
	s_wait_xcnt 0x0
	s_bfe_u32 s0, ttmp6, 0x4000c
	s_and_b32 s1, ttmp6, 15
	s_add_co_i32 s0, s0, 1
	s_getreg_b32 s3, hwreg(HW_REG_IB_STS2, 6, 4)
	s_mul_i32 s0, ttmp9, s0
	s_delay_alu instid0(SALU_CYCLE_1) | instskip(SKIP_4) | instid1(SALU_CYCLE_1)
	s_add_co_i32 s1, s1, s0
	s_wait_kmcnt 0x0
	s_and_b32 s2, s2, 0xffff
	s_cmp_eq_u32 s3, 0
	s_cselect_b32 s0, ttmp9, s1
	v_mad_u32 v0, s0, s2, v0
	s_mov_b32 s0, exec_lo
	s_delay_alu instid0(VALU_DEP_1) | instskip(NEXT) | instid1(VALU_DEP_1)
	v_ashrrev_i32_e32 v1, 31, v0
	v_cmpx_gt_u64_e64 s[6:7], v[0:1]
	s_cbranch_execz .LBB0_2
; %bb.1:
	v_lshl_add_u64 v[2:3], v[0:1], 3, s[4:5]
	global_store_b64 v[2:3], v[0:1], off
.LBB0_2:
	s_endpgm
	.section	.rodata,"a",@progbits
	.p2align	6, 0x0
	.amdhsa_kernel _Z9initTablePyy
		.amdhsa_group_segment_fixed_size 0
		.amdhsa_private_segment_fixed_size 0
		.amdhsa_kernarg_size 272
		.amdhsa_user_sgpr_count 2
		.amdhsa_user_sgpr_dispatch_ptr 0
		.amdhsa_user_sgpr_queue_ptr 0
		.amdhsa_user_sgpr_kernarg_segment_ptr 1
		.amdhsa_user_sgpr_dispatch_id 0
		.amdhsa_user_sgpr_kernarg_preload_length 0
		.amdhsa_user_sgpr_kernarg_preload_offset 0
		.amdhsa_user_sgpr_private_segment_size 0
		.amdhsa_wavefront_size32 1
		.amdhsa_uses_dynamic_stack 0
		.amdhsa_enable_private_segment 0
		.amdhsa_system_sgpr_workgroup_id_x 1
		.amdhsa_system_sgpr_workgroup_id_y 0
		.amdhsa_system_sgpr_workgroup_id_z 0
		.amdhsa_system_sgpr_workgroup_info 0
		.amdhsa_system_vgpr_workitem_id 0
		.amdhsa_next_free_vgpr 4
		.amdhsa_next_free_sgpr 8
		.amdhsa_named_barrier_count 0
		.amdhsa_reserve_vcc 0
		.amdhsa_float_round_mode_32 0
		.amdhsa_float_round_mode_16_64 0
		.amdhsa_float_denorm_mode_32 3
		.amdhsa_float_denorm_mode_16_64 3
		.amdhsa_fp16_overflow 0
		.amdhsa_memory_ordered 1
		.amdhsa_forward_progress 1
		.amdhsa_inst_pref_size 2
		.amdhsa_round_robin_scheduling 0
		.amdhsa_exception_fp_ieee_invalid_op 0
		.amdhsa_exception_fp_denorm_src 0
		.amdhsa_exception_fp_ieee_div_zero 0
		.amdhsa_exception_fp_ieee_overflow 0
		.amdhsa_exception_fp_ieee_underflow 0
		.amdhsa_exception_fp_ieee_inexact 0
		.amdhsa_exception_int_div_zero 0
	.end_amdhsa_kernel
	.text
.Lfunc_end0:
	.size	_Z9initTablePyy, .Lfunc_end0-_Z9initTablePyy
                                        ; -- End function
	.set _Z9initTablePyy.num_vgpr, 4
	.set _Z9initTablePyy.num_agpr, 0
	.set _Z9initTablePyy.numbered_sgpr, 8
	.set _Z9initTablePyy.num_named_barrier, 0
	.set _Z9initTablePyy.private_seg_size, 0
	.set _Z9initTablePyy.uses_vcc, 0
	.set _Z9initTablePyy.uses_flat_scratch, 0
	.set _Z9initTablePyy.has_dyn_sized_stack, 0
	.set _Z9initTablePyy.has_recursion, 0
	.set _Z9initTablePyy.has_indirect_call, 0
	.section	.AMDGPU.csdata,"",@progbits
; Kernel info:
; codeLenInByte = 132
; TotalNumSgprs: 8
; NumVgprs: 4
; ScratchSize: 0
; MemoryBound: 0
; FloatMode: 240
; IeeeMode: 1
; LDSByteSize: 0 bytes/workgroup (compile time only)
; SGPRBlocks: 0
; VGPRBlocks: 0
; NumSGPRsForWavesPerEU: 8
; NumVGPRsForWavesPerEU: 4
; NamedBarCnt: 0
; Occupancy: 16
; WaveLimiterHint : 0
; COMPUTE_PGM_RSRC2:SCRATCH_EN: 0
; COMPUTE_PGM_RSRC2:USER_SGPR: 2
; COMPUTE_PGM_RSRC2:TRAP_HANDLER: 0
; COMPUTE_PGM_RSRC2:TGID_X_EN: 1
; COMPUTE_PGM_RSRC2:TGID_Y_EN: 0
; COMPUTE_PGM_RSRC2:TGID_Z_EN: 0
; COMPUTE_PGM_RSRC2:TIDIG_COMP_CNT: 0
	.text
	.protected	_Z6updatePyy            ; -- Begin function _Z6updatePyy
	.globl	_Z6updatePyy
	.p2align	8
	.type	_Z6updatePyy,@function
_Z6updatePyy:                           ; @_Z6updatePyy
; %bb.0:
	s_load_b64 s[10:11], s[0:1], 0x8
	v_mov_b32_e32 v1, 0
	s_mov_b32 s7, exec_lo
	s_wait_kmcnt 0x0
	s_lshr_b64 s[2:3], s[10:11], 5
	s_delay_alu instid0(SALU_CYCLE_1) | instskip(SKIP_2) | instid1(VALU_DEP_1)
	s_and_b64 s[8:9], s[2:3], 0x1ffffffffffffff
	s_mov_b64 s[2:3], 0x1249249249249249
	v_mul_u64_e32 v[2:3], s[8:9], v[0:1]
	v_max_i64 v[4:5], v[2:3], 0
	v_ashrrev_i32_e32 v6, 31, v3
	s_delay_alu instid0(VALU_DEP_1) | instskip(NEXT) | instid1(VALU_DEP_1)
	v_mov_b32_e32 v7, v6
	v_sub_nc_u64_e32 v[6:7], v[6:7], v[2:3]
	s_delay_alu instid0(VALU_DEP_1) | instskip(NEXT) | instid1(VALU_DEP_1)
	v_add_nc_u64_e32 v[4:5], v[6:7], v[4:5]
	v_mov_b32_e32 v0, v5
	s_delay_alu instid0(VALU_DEP_1) | instskip(NEXT) | instid1(VALU_DEP_1)
	v_mad_nc_u64_u32 v[6:7], 0x70000000, v4, v[0:1]
	v_mov_b32_e32 v0, v7
	s_delay_alu instid0(VALU_DEP_1) | instskip(NEXT) | instid1(VALU_DEP_1)
	v_mad_nc_u64_u32 v[4:5], 0x70000000, v5, v[0:1]
	v_dual_lshrrev_b32 v0, 31, v3 :: v_dual_lshrrev_b32 v4, 27, v5
	s_delay_alu instid0(VALU_DEP_1) | instskip(NEXT) | instid1(VALU_DEP_1)
	v_add_nc_u32_e32 v0, v4, v0
	v_mad_nc_u64_u32 v[2:3], 0x49249249, v0, v[2:3]
	s_delay_alu instid0(VALU_DEP_1) | instskip(NEXT) | instid1(VALU_DEP_1)
	v_mad_u32 v3, 0x12492492, v0, v3
	v_max_u64 v[4:5], v[2:3], s[2:3]
	s_delay_alu instid0(VALU_DEP_1) | instskip(NEXT) | instid1(VALU_DEP_1)
	v_add_nc_u64_e32 v[4:5], -1, v[4:5]
	v_mov_b32_e32 v0, v5
	s_delay_alu instid0(VALU_DEP_1) | instskip(NEXT) | instid1(VALU_DEP_1)
	v_mad_nc_u64_u32 v[6:7], 0x70000000, v4, v[0:1]
	v_mov_b32_e32 v0, v7
	s_delay_alu instid0(VALU_DEP_1) | instskip(NEXT) | instid1(VALU_DEP_1)
	v_mad_nc_u64_u32 v[6:7], 0x70000000, v5, v[0:1]
	v_lshrrev_b32_e32 v0, 27, v7
	s_delay_alu instid0(VALU_DEP_1) | instskip(NEXT) | instid1(VALU_DEP_1)
	v_mul_u64_e32 v[0:1], 0x1249249249249249, v[0:1]
	v_sub_nc_u64_e32 v[0:1], v[4:5], v[0:1]
	s_delay_alu instid0(VALU_DEP_1) | instskip(NEXT) | instid1(VALU_DEP_1)
	v_sub_nc_u64_e32 v[0:1], v[0:1], v[4:5]
	v_add_nc_u64_e32 v[0:1], v[0:1], v[2:3]
	v_mov_b64_e32 v[2:3], 1
	s_delay_alu instid0(VALU_DEP_2)
	v_cmpx_ne_u64_e32 0, v[0:1]
	s_cbranch_execz .LBB1_18
; %bb.1:
	v_dual_mov_b32 v2, v0 :: v_dual_mov_b32 v3, v1
	v_dual_mov_b32 v4, v0 :: v_dual_mov_b32 v5, v1
	;; [unrolled: 1-line block ×3, first 2 shown]
	s_mov_b32 s16, 59
	s_mov_b32 s17, 60
	;; [unrolled: 1-line block ×4, first 2 shown]
	s_mov_b32 s21, -4
	s_mov_b32 s20, 0
                                        ; implicit-def: $sgpr22
                                        ; implicit-def: $sgpr12
                                        ; implicit-def: $sgpr13
                                        ; implicit-def: $sgpr14
                                        ; implicit-def: $sgpr15
.LBB1_2:                                ; =>This Inner Loop Header: Depth=1
	s_lshl_b64 s[2:3], 1, s18
	s_lshl_b64 s[4:5], 1, s19
	;; [unrolled: 1-line block ×4, first 2 shown]
	s_cmp_eq_u32 s21, 52
	v_and_b32_e32 v10, s26, v6
	v_and_b32_e32 v13, s25, v5
	;; [unrolled: 1-line block ×5, first 2 shown]
	s_cselect_b32 s23, -1, 0
	s_add_co_i32 s21, s21, 4
	s_delay_alu instid0(SALU_CYCLE_1)
	v_dual_mov_b32 v8, s21 :: v_dual_bitop2_b32 v11, s27, v7 bitop3:0x40
	v_and_b32_e32 v15, s5, v1
	v_and_b32_e32 v14, s4, v0
	v_cmp_ne_u64_e32 vcc_lo, 0, v[16:17]
	v_cmp_ne_u64_e64 s2, 0, v[12:13]
	v_cmp_ne_u64_e64 s3, 0, v[10:11]
	s_add_co_i32 s19, s19, -4
	v_cmp_ne_u64_e64 s4, 0, v[14:15]
	s_add_co_i32 s18, s18, -4
	s_add_co_i32 s17, s17, -4
	v_cndmask_b32_e64 v9, 0, 1, vcc_lo
	v_cndmask_b32_e64 v12, 0, 1, s2
	v_cndmask_b32_e64 v10, 0, 1, s3
	s_add_co_i32 s16, s16, -4
	v_cndmask_b32_e64 v11, 0, 1, s4
	v_lshlrev_b16 v9, 1, v9
	v_lshlrev_b16 v12, 2, v12
	;; [unrolled: 1-line block ×3, first 2 shown]
	s_delay_alu instid0(VALU_DEP_3) | instskip(NEXT) | instid1(VALU_DEP_2)
	v_bitop3_b16 v9, v11, 3, v9 bitop3:0xc8
	v_or_b32_e32 v10, v10, v12
	s_delay_alu instid0(VALU_DEP_1) | instskip(NEXT) | instid1(VALU_DEP_1)
	v_bitop3_b16 v9, v9, 15, v10 bitop3:0xc8
	v_cmp_ne_u16_e64 s5, 0, v9
	v_cmp_eq_u16_e64 s6, 0, v9
	s_or_b32 s5, s5, s23
	s_delay_alu instid0(SALU_CYCLE_1) | instskip(NEXT) | instid1(SALU_CYCLE_1)
	s_and_b32 s5, exec_lo, s5
	s_or_b32 s20, s5, s20
	s_and_not1_b32 s5, s15, exec_lo
	s_and_b32 s4, s4, exec_lo
	s_and_not1_b32 s14, s14, exec_lo
	s_and_b32 s23, vcc_lo, exec_lo
	s_and_not1_b32 s13, s13, exec_lo
	s_and_b32 s2, s2, exec_lo
	s_and_not1_b32 s12, s12, exec_lo
	s_and_b32 s3, s3, exec_lo
	;; [unrolled: 2-line block ×3, first 2 shown]
	s_or_b32 s15, s5, s4
	s_or_b32 s14, s14, s23
	;; [unrolled: 1-line block ×5, first 2 shown]
	s_and_not1_b32 exec_lo, exec_lo, s20
	s_cbranch_execnz .LBB1_2
; %bb.3:
	s_or_b32 exec_lo, exec_lo, s20
                                        ; implicit-def: $vgpr5
	s_and_saveexec_b32 s2, s22
	s_delay_alu instid0(SALU_CYCLE_1)
	s_xor_b32 s2, exec_lo, s2
	s_cbranch_execz .LBB1_9
; %bb.4:
	v_dual_mov_b32 v3, 0 :: v_dual_bitop2_b32 v2, 4, v0 bitop3:0x40
	v_mov_b32_e32 v5, 2
	s_mov_b32 s3, exec_lo
	s_delay_alu instid0(VALU_DEP_2)
	v_cmpx_eq_u64_e32 0, v[2:3]
	s_cbranch_execz .LBB1_8
; %bb.5:
	v_dual_mov_b32 v5, 1 :: v_dual_bitop2_b32 v2, 2, v0 bitop3:0x40
	s_mov_b32 s4, exec_lo
	s_delay_alu instid0(VALU_DEP_1)
	v_cmpx_eq_u64_e32 0, v[2:3]
; %bb.6:
	v_dual_mov_b32 v3, 0 :: v_dual_bitop2_b32 v2, 1, v0 bitop3:0x40
	s_delay_alu instid0(VALU_DEP_1)
	v_cmp_eq_u64_e32 vcc_lo, 0, v[2:3]
	v_cndmask_b32_e64 v5, 0, -1, vcc_lo
; %bb.7:
	s_or_b32 exec_lo, exec_lo, s4
.LBB1_8:
	s_delay_alu instid0(SALU_CYCLE_1)
	s_or_b32 exec_lo, exec_lo, s3
.LBB1_9:
	s_and_not1_saveexec_b32 s2, s2
	s_cbranch_execz .LBB1_11
; %bb.10:
	v_cndmask_b32_e64 v2, 0, -1, s14
	v_cndmask_b32_e64 v3, 0, -1, s15
	v_cndmask_b32_e64 v4, 0, -1, s13
	v_cndmask_b32_e64 v5, 0, 1, s12
	s_delay_alu instid0(VALU_DEP_4) | instskip(NEXT) | instid1(VALU_DEP_4)
	v_and_b32_e32 v2, 3, v2
	v_and_b32_e32 v3, 4, v3
	s_delay_alu instid0(VALU_DEP_4) | instskip(NEXT) | instid1(VALU_DEP_3)
	v_and_b32_e32 v4, 2, v4
	v_max_u16 v2, v2, v5
	s_delay_alu instid0(VALU_DEP_1) | instskip(NEXT) | instid1(VALU_DEP_1)
	v_max3_u16 v2, v3, v4, v2
	v_sub_nc_u16 v2, 4, v2
	s_delay_alu instid0(VALU_DEP_1) | instskip(NEXT) | instid1(VALU_DEP_1)
	v_and_b32_e32 v2, 0xff, v2
	v_add_nc_u32_e32 v2, v8, v2
	s_delay_alu instid0(VALU_DEP_1)
	v_sub_nc_u32_e32 v5, 62, v2
.LBB1_11:
	s_or_b32 exec_lo, exec_lo, s2
	v_mov_b64_e32 v[2:3], 2
	s_mov_b32 s3, 0
	s_mov_b32 s2, exec_lo
	v_cmpx_lt_i32_e32 0, v5
	s_cbranch_execz .LBB1_17
; %bb.12:
	v_dual_mov_b32 v4, 0 :: v_dual_add_nc_u32 v8, 1, v5
	v_mov_b64_e32 v[2:3], 2
	s_delay_alu instid0(VALU_DEP_2)
	v_dual_mov_b32 v7, v4 :: v_dual_add_nc_u32 v6, -1, v5
	s_branch .LBB1_14
.LBB1_13:                               ;   in Loop: Header=BB1_14 Depth=1
	s_or_b32 exec_lo, exec_lo, s4
	v_add_nc_u32_e32 v8, -1, v8
	v_add_nc_u64_e32 v[6:7], -1, v[6:7]
	s_delay_alu instid0(VALU_DEP_2) | instskip(SKIP_1) | instid1(SALU_CYCLE_1)
	v_cmp_gt_u32_e32 vcc_lo, 2, v8
	s_or_b32 s3, vcc_lo, s3
	s_and_not1_b32 exec_lo, exec_lo, s3
	s_cbranch_execz .LBB1_16
.LBB1_14:                               ; =>This Inner Loop Header: Depth=1
	s_delay_alu instid0(VALU_DEP_2) | instskip(SKIP_1) | instid1(VALU_DEP_2)
	v_dual_lshlrev_b32 v5, 1, v2 :: v_dual_lshlrev_b32 v9, 6, v2
	v_dual_lshlrev_b32 v10, 7, v2 :: v_dual_lshlrev_b32 v11, 8, v2
	v_dual_lshlrev_b32 v12, 9, v2 :: v_dual_bitop2_b32 v5, 4, v5 bitop3:0x40
	s_delay_alu instid0(VALU_DEP_3) | instskip(SKIP_1) | instid1(VALU_DEP_4)
	v_and_b32_e32 v9, 0x1000, v9
	v_dual_lshlrev_b32 v13, 10, v2 :: v_dual_lshlrev_b32 v14, 11, v2
	v_and_b32_e32 v11, 0x10000, v11
	s_delay_alu instid0(VALU_DEP_4) | instskip(NEXT) | instid1(VALU_DEP_4)
	v_and_b32_e32 v12, 0x40000, v12
	v_and_or_b32 v9, 0x4000, v10, v9
	v_dual_lshlrev_b32 v10, 12, v2 :: v_dual_lshlrev_b32 v15, 13, v2
	v_and_b32_e32 v13, 0x100000, v13
	v_and_b32_e32 v14, 0x400000, v14
	s_delay_alu instid0(VALU_DEP_4) | instskip(NEXT) | instid1(VALU_DEP_4)
	v_or3_b32 v9, v9, v11, v12
	v_and_b32_e32 v10, 0x1000000, v10
	v_and_b32_e32 v11, 0x4000000, v15
	v_dual_lshlrev_b32 v12, 14, v2 :: v_dual_lshlrev_b32 v15, 15, v2
	s_delay_alu instid0(VALU_DEP_4) | instskip(SKIP_1) | instid1(VALU_DEP_3)
	v_or3_b32 v9, v9, v13, v14
	v_dual_lshlrev_b32 v13, 2, v2 :: v_dual_lshlrev_b32 v14, 3, v2
	v_and_b32_e32 v12, 0x10000000, v12
	s_delay_alu instid0(VALU_DEP_4) | instskip(NEXT) | instid1(VALU_DEP_4)
	v_and_b32_e32 v15, 2.0, v15
	v_bitop3_b32 v9, v9, v11, v10 bitop3:0x36
	v_and_or_b32 v5, v2, 1, v5
	v_and_b32_e32 v10, 16, v13
	v_and_b32_e32 v11, 64, v14
	v_dual_lshlrev_b32 v13, 4, v2 :: v_dual_lshlrev_b32 v14, 5, v2
	v_xor3_b32 v9, v9, v12, v15
	v_lshlrev_b64_e32 v[16:17], 19, v[2:3]
	s_delay_alu instid0(VALU_DEP_4) | instskip(NEXT) | instid1(VALU_DEP_4)
	v_or3_b32 v5, v5, v10, v11
	v_and_b32_e32 v10, 0x100, v13
	v_and_b32_e32 v11, 0x400, v14
	v_or3_b32 v9, v9, 0, 0
	v_lshlrev_b64_e32 v[12:13], 17, v[2:3]
	v_lshlrev_b64_e32 v[14:15], 18, v[2:3]
	;; [unrolled: 1-line block ×3, first 2 shown]
	v_or3_b32 v5, v5, v10, v11
	v_or3_b32 v9, v9, 0, 0
	v_lshlrev_b64_e32 v[20:21], 21, v[2:3]
	v_lshlrev_b64_e32 v[22:23], 22, v[2:3]
	v_and_b32_e32 v12, 4, v13
	v_and_b32_e32 v13, 64, v17
	v_xor_b32_e32 v9, v9, v5
	v_and_b32_e32 v5, 1, v3
	v_and_b32_e32 v14, 0x100, v19
	v_lshlrev_b64_e32 v[24:25], 23, v[2:3]
	s_mov_b32 s4, exec_lo
	v_xor_b32_e32 v10, 7, v9
	v_cmp_eq_u64_e32 vcc_lo, 0, v[4:5]
	s_delay_alu instid0(VALU_DEP_2) | instskip(NEXT) | instid1(VALU_DEP_1)
	v_dual_cndmask_b32 v9, v10, v9, vcc_lo :: v_dual_bitop2_b32 v5, 2, v3 bitop3:0x40
	v_cmp_eq_u64_e32 vcc_lo, 0, v[4:5]
	v_and_b32_e32 v5, 4, v3
	s_delay_alu instid0(VALU_DEP_3) | instskip(NEXT) | instid1(VALU_DEP_1)
	v_xor_b32_e32 v10, 28, v9
	v_cndmask_b32_e32 v9, v10, v9, vcc_lo
	s_delay_alu instid0(VALU_DEP_3) | instskip(SKIP_1) | instid1(VALU_DEP_3)
	v_cmp_eq_u64_e32 vcc_lo, 0, v[4:5]
	v_and_b32_e32 v5, 8, v3
	v_xor_b32_e32 v10, 0x70, v9
	s_delay_alu instid0(VALU_DEP_1) | instskip(NEXT) | instid1(VALU_DEP_3)
	v_cndmask_b32_e32 v9, v10, v9, vcc_lo
	v_cmp_eq_u64_e32 vcc_lo, 0, v[4:5]
	v_and_b32_e32 v5, 16, v3
	s_delay_alu instid0(VALU_DEP_3) | instskip(NEXT) | instid1(VALU_DEP_1)
	v_xor_b32_e32 v10, 0x1c0, v9
	v_cndmask_b32_e32 v9, v10, v9, vcc_lo
	s_delay_alu instid0(VALU_DEP_3) | instskip(SKIP_1) | instid1(VALU_DEP_3)
	v_cmp_eq_u64_e32 vcc_lo, 0, v[4:5]
	v_and_b32_e32 v5, 32, v3
	v_xor_b32_e32 v10, 0x700, v9
	s_delay_alu instid0(VALU_DEP_1) | instskip(NEXT) | instid1(VALU_DEP_3)
	v_cndmask_b32_e32 v9, v10, v9, vcc_lo
	;; [unrolled: 11-line block ×3, first 2 shown]
	v_cmp_eq_u64_e32 vcc_lo, 0, v[4:5]
	v_lshlrev_b64_e32 v[10:11], 16, v[2:3]
	v_and_b32_e32 v5, 0x100, v3
	s_delay_alu instid0(VALU_DEP_4) | instskip(NEXT) | instid1(VALU_DEP_1)
	v_xor_b32_e32 v10, 0x1c000, v9
	v_cndmask_b32_e32 v9, v10, v9, vcc_lo
	s_delay_alu instid0(VALU_DEP_3) | instskip(SKIP_1) | instid1(VALU_DEP_3)
	v_cmp_eq_u64_e32 vcc_lo, 0, v[4:5]
	v_and_b32_e32 v5, 0x200, v3
	v_xor_b32_e32 v10, 0x70000, v9
	s_delay_alu instid0(VALU_DEP_1) | instskip(NEXT) | instid1(VALU_DEP_3)
	v_dual_cndmask_b32 v9, v10, v9, vcc_lo :: v_dual_bitop2_b32 v11, 1, v11 bitop3:0x40
	v_cmp_eq_u64_e32 vcc_lo, 0, v[4:5]
	v_and_b32_e32 v10, 16, v15
	s_delay_alu instid0(VALU_DEP_3) | instskip(SKIP_3) | instid1(VALU_DEP_4)
	v_or_b32_e32 v11, v11, v12
	v_and_b32_e32 v5, 0x400, v3
	v_xor_b32_e32 v12, 0x1c0000, v9
	v_and_b32_e32 v15, 0x400, v21
	v_or3_b32 v13, v11, v10, v13
	v_lshlrev_b64_e32 v[10:11], 24, v[2:3]
	s_delay_alu instid0(VALU_DEP_4)
	v_cndmask_b32_e32 v9, v12, v9, vcc_lo
	v_cmp_eq_u64_e32 vcc_lo, 0, v[4:5]
	v_and_b32_e32 v5, 0x800, v3
	v_or3_b32 v14, v13, v14, v15
	v_and_b32_e32 v10, 0x1000, v23
	v_xor_b32_e32 v15, 0x700000, v9
	v_lshlrev_b64_e32 v[12:13], 25, v[2:3]
	v_and_b32_e32 v12, 0x4000, v25
	s_delay_alu instid0(VALU_DEP_3) | instskip(SKIP_2) | instid1(VALU_DEP_3)
	v_cndmask_b32_e32 v9, v15, v9, vcc_lo
	v_cmp_eq_u64_e32 vcc_lo, 0, v[4:5]
	v_and_b32_e32 v5, 0x1000, v3
	v_xor_b32_e32 v16, 0x1c00000, v9
	s_delay_alu instid0(VALU_DEP_1) | instskip(NEXT) | instid1(VALU_DEP_3)
	v_cndmask_b32_e32 v9, v16, v9, vcc_lo
	v_cmp_eq_u64_e32 vcc_lo, 0, v[4:5]
	v_and_b32_e32 v5, 0x2000, v3
	s_delay_alu instid0(VALU_DEP_3) | instskip(NEXT) | instid1(VALU_DEP_1)
	v_xor_b32_e32 v16, 0x7000000, v9
	v_cndmask_b32_e32 v9, v16, v9, vcc_lo
	s_delay_alu instid0(VALU_DEP_3) | instskip(SKIP_1) | instid1(VALU_DEP_3)
	v_cmp_eq_u64_e32 vcc_lo, 0, v[4:5]
	v_and_b32_e32 v5, 0x4000, v3
	v_xor_b32_e32 v16, 0x1c000000, v9
	v_xor_b32_e32 v10, v14, v10
	v_lshlrev_b64_e32 v[14:15], 26, v[2:3]
	v_and_b32_e32 v14, 0x10000, v11
	s_delay_alu instid0(VALU_DEP_3)
	v_dual_cndmask_b32 v9, v16, v9, vcc_lo :: v_dual_bitop2_b32 v12, v10, v12 bitop3:0x14
	v_lshlrev_b64_e32 v[10:11], 27, v[2:3]
	v_and_b32_e32 v10, 0x40000, v13
	v_cmp_eq_u64_e32 vcc_lo, 0, v[4:5]
	v_and_b32_e32 v5, 0x8000, v3
	v_xor_b32_e32 v14, v12, v14
	v_lshlrev_b64_e32 v[12:13], 28, v[2:3]
	v_and_b32_e32 v12, 0x100000, v15
	s_delay_alu instid0(VALU_DEP_3) | instskip(SKIP_2) | instid1(VALU_DEP_3)
	v_xor_b32_e32 v10, v14, v10
	v_lshlrev_b64_e32 v[14:15], 29, v[2:3]
	v_and_b32_e32 v14, 0x400000, v11
	v_xor_b32_e32 v12, v10, v12
	v_lshlrev_b64_e32 v[10:11], 30, v[2:3]
	v_and_b32_e32 v10, 0x1000000, v13
	s_delay_alu instid0(VALU_DEP_3) | instskip(SKIP_3) | instid1(VALU_DEP_4)
	v_xor_b32_e32 v14, v12, v14
	v_lshlrev_b64_e32 v[12:13], 31, v[2:3]
	v_and_b32_e32 v12, 0x4000000, v15
	v_and_b32_e32 v11, 0x10000000, v11
	v_xor_b32_e32 v10, v14, v10
	s_delay_alu instid0(VALU_DEP_4) | instskip(NEXT) | instid1(VALU_DEP_2)
	v_and_b32_e32 v13, 2.0, v13
	v_xor_b32_e32 v10, v10, v12
	v_xor_b32_e32 v12, 0x70000000, v9
	s_delay_alu instid0(VALU_DEP_1) | instskip(SKIP_1) | instid1(VALU_DEP_2)
	v_dual_cndmask_b32 v9, v12, v9, vcc_lo :: v_dual_bitop2_b32 v10, v10, v11 bitop3:0x14
	v_cmp_eq_u64_e32 vcc_lo, 0, v[4:5]
	v_xor_b32_e32 v10, v10, v13
	s_delay_alu instid0(VALU_DEP_3) | instskip(NEXT) | instid1(VALU_DEP_1)
	v_xor_b32_e32 v11, -2.0, v9
	v_dual_cndmask_b32 v9, v11, v9, vcc_lo :: v_dual_bitop2_b32 v5, 1, v10 bitop3:0x14
	s_delay_alu instid0(VALU_DEP_1) | instskip(SKIP_1) | instid1(VALU_DEP_2)
	v_cndmask_b32_e32 v10, v5, v10, vcc_lo
	v_and_b32_e32 v5, 0x10000, v3
	v_xor_b32_e32 v11, 7, v10
	s_delay_alu instid0(VALU_DEP_2) | instskip(SKIP_1) | instid1(VALU_DEP_3)
	v_cmp_eq_u64_e32 vcc_lo, 0, v[4:5]
	v_and_b32_e32 v5, 0x20000, v3
	v_cndmask_b32_e32 v10, v11, v10, vcc_lo
	s_delay_alu instid0(VALU_DEP_2) | instskip(SKIP_1) | instid1(VALU_DEP_3)
	v_cmp_eq_u64_e32 vcc_lo, 0, v[4:5]
	v_and_b32_e32 v5, 0x40000, v3
	v_xor_b32_e32 v11, 28, v10
	s_delay_alu instid0(VALU_DEP_1) | instskip(NEXT) | instid1(VALU_DEP_3)
	v_cndmask_b32_e32 v10, v11, v10, vcc_lo
	v_cmp_eq_u64_e32 vcc_lo, 0, v[4:5]
	v_and_b32_e32 v5, 0x80000, v3
	s_delay_alu instid0(VALU_DEP_3) | instskip(NEXT) | instid1(VALU_DEP_1)
	v_xor_b32_e32 v11, 0x70, v10
	v_cndmask_b32_e32 v10, v11, v10, vcc_lo
	s_delay_alu instid0(VALU_DEP_3) | instskip(SKIP_1) | instid1(VALU_DEP_3)
	v_cmp_eq_u64_e32 vcc_lo, 0, v[4:5]
	v_and_b32_e32 v5, 0x100000, v3
	v_xor_b32_e32 v11, 0x1c0, v10
	s_delay_alu instid0(VALU_DEP_1) | instskip(NEXT) | instid1(VALU_DEP_3)
	v_cndmask_b32_e32 v10, v11, v10, vcc_lo
	v_cmp_eq_u64_e32 vcc_lo, 0, v[4:5]
	v_and_b32_e32 v5, 0x200000, v3
	s_delay_alu instid0(VALU_DEP_3) | instskip(NEXT) | instid1(VALU_DEP_1)
	v_xor_b32_e32 v11, 0x700, v10
	v_cndmask_b32_e32 v10, v11, v10, vcc_lo
	s_delay_alu instid0(VALU_DEP_3) | instskip(SKIP_1) | instid1(VALU_DEP_3)
	;; [unrolled: 11-line block ×6, first 2 shown]
	v_cmp_eq_u64_e32 vcc_lo, 0, v[4:5]
	v_and_b32_e32 v5, 2.0, v3
	v_xor_b32_e32 v11, 0x1c000000, v10
	s_delay_alu instid0(VALU_DEP_1) | instskip(NEXT) | instid1(VALU_DEP_3)
	v_cndmask_b32_e32 v10, v11, v10, vcc_lo
	v_cmp_eq_u64_e32 vcc_lo, 0, v[4:5]
	s_delay_alu instid0(VALU_DEP_2) | instskip(NEXT) | instid1(VALU_DEP_1)
	v_xor_b32_e32 v11, 0x70000000, v10
	v_cndmask_b32_e32 v5, v11, v10, vcc_lo
	v_lshrrev_b64 v[10:11], v6, v[0:1]
	v_cmp_gt_i64_e32 vcc_lo, 0, v[2:3]
	v_xor_b32_e32 v2, 7, v9
	s_delay_alu instid0(VALU_DEP_3) | instskip(NEXT) | instid1(VALU_DEP_2)
	v_and_b32_e32 v10, 1, v10
	v_dual_cndmask_b32 v2, v9, v2, vcc_lo :: v_dual_bitop2_b32 v11, -2.0, v5 bitop3:0x14
	s_delay_alu instid0(VALU_DEP_1) | instskip(NEXT) | instid1(VALU_DEP_3)
	v_cndmask_b32_e32 v3, v5, v11, vcc_lo
	v_cmpx_eq_u32_e32 1, v10
	s_cbranch_execz .LBB1_13
; %bb.15:                               ;   in Loop: Header=BB1_14 Depth=1
	s_delay_alu instid0(VALU_DEP_2) | instskip(SKIP_1) | instid1(VALU_DEP_2)
	v_ashrrev_i32_e32 v5, 31, v3
	v_lshlrev_b64_e32 v[2:3], 1, v[2:3]
	v_and_b32_e32 v5, 7, v5
	s_delay_alu instid0(VALU_DEP_1)
	v_xor_b32_e32 v2, v5, v2
	s_branch .LBB1_13
.LBB1_16:
	s_or_b32 exec_lo, exec_lo, s3
.LBB1_17:
	s_delay_alu instid0(SALU_CYCLE_1)
	s_or_b32 exec_lo, exec_lo, s2
.LBB1_18:
	s_delay_alu instid0(SALU_CYCLE_1)
	s_or_b32 exec_lo, exec_lo, s7
	s_load_b64 s[0:1], s[0:1], 0x0
	s_cmp_eq_u64 s[8:9], 0
	s_cbranch_scc1 .LBB1_21
; %bb.19:
	s_add_nc_u64 s[2:3], s[10:11], -1
.LBB1_20:                               ; =>This Inner Loop Header: Depth=1
	s_wait_xcnt 0x0
	v_ashrrev_i32_e32 v0, 31, v3
	v_lshlrev_b64_e32 v[2:3], 1, v[2:3]
	s_add_nc_u64 s[8:9], s[8:9], -1
	s_delay_alu instid0(SALU_CYCLE_1) | instskip(NEXT) | instid1(VALU_DEP_1)
	s_cmp_eq_u64 s[8:9], 0
	v_and_b32_e32 v1, s3, v3
	v_and_b32_e32 v0, 7, v0
	s_delay_alu instid0(VALU_DEP_1) | instskip(NEXT) | instid1(VALU_DEP_1)
	v_xor_b32_e32 v2, v0, v2
	v_and_b32_e32 v0, s2, v2
	s_wait_kmcnt 0x0
	s_delay_alu instid0(VALU_DEP_1)
	v_lshl_add_u64 v[0:1], v[0:1], 3, s[0:1]
	global_atomic_xor_b64 v[0:1], v[2:3], off scope:SCOPE_DEV
	s_cbranch_scc0 .LBB1_20
.LBB1_21:
	s_endpgm
	.section	.rodata,"a",@progbits
	.p2align	6, 0x0
	.amdhsa_kernel _Z6updatePyy
		.amdhsa_group_segment_fixed_size 0
		.amdhsa_private_segment_fixed_size 0
		.amdhsa_kernarg_size 16
		.amdhsa_user_sgpr_count 2
		.amdhsa_user_sgpr_dispatch_ptr 0
		.amdhsa_user_sgpr_queue_ptr 0
		.amdhsa_user_sgpr_kernarg_segment_ptr 1
		.amdhsa_user_sgpr_dispatch_id 0
		.amdhsa_user_sgpr_kernarg_preload_length 0
		.amdhsa_user_sgpr_kernarg_preload_offset 0
		.amdhsa_user_sgpr_private_segment_size 0
		.amdhsa_wavefront_size32 1
		.amdhsa_uses_dynamic_stack 0
		.amdhsa_enable_private_segment 0
		.amdhsa_system_sgpr_workgroup_id_x 1
		.amdhsa_system_sgpr_workgroup_id_y 0
		.amdhsa_system_sgpr_workgroup_id_z 0
		.amdhsa_system_sgpr_workgroup_info 0
		.amdhsa_system_vgpr_workitem_id 0
		.amdhsa_next_free_vgpr 26
		.amdhsa_next_free_sgpr 28
		.amdhsa_named_barrier_count 0
		.amdhsa_reserve_vcc 1
		.amdhsa_float_round_mode_32 0
		.amdhsa_float_round_mode_16_64 0
		.amdhsa_float_denorm_mode_32 3
		.amdhsa_float_denorm_mode_16_64 3
		.amdhsa_fp16_overflow 0
		.amdhsa_memory_ordered 1
		.amdhsa_forward_progress 1
		.amdhsa_inst_pref_size 21
		.amdhsa_round_robin_scheduling 0
		.amdhsa_exception_fp_ieee_invalid_op 0
		.amdhsa_exception_fp_denorm_src 0
		.amdhsa_exception_fp_ieee_div_zero 0
		.amdhsa_exception_fp_ieee_overflow 0
		.amdhsa_exception_fp_ieee_underflow 0
		.amdhsa_exception_fp_ieee_inexact 0
		.amdhsa_exception_int_div_zero 0
	.end_amdhsa_kernel
	.text
.Lfunc_end1:
	.size	_Z6updatePyy, .Lfunc_end1-_Z6updatePyy
                                        ; -- End function
	.set _Z6updatePyy.num_vgpr, 26
	.set _Z6updatePyy.num_agpr, 0
	.set _Z6updatePyy.numbered_sgpr, 28
	.set _Z6updatePyy.num_named_barrier, 0
	.set _Z6updatePyy.private_seg_size, 0
	.set _Z6updatePyy.uses_vcc, 1
	.set _Z6updatePyy.uses_flat_scratch, 0
	.set _Z6updatePyy.has_dyn_sized_stack, 0
	.set _Z6updatePyy.has_recursion, 0
	.set _Z6updatePyy.has_indirect_call, 0
	.section	.AMDGPU.csdata,"",@progbits
; Kernel info:
; codeLenInByte = 2600
; TotalNumSgprs: 30
; NumVgprs: 26
; ScratchSize: 0
; MemoryBound: 0
; FloatMode: 240
; IeeeMode: 1
; LDSByteSize: 0 bytes/workgroup (compile time only)
; SGPRBlocks: 0
; VGPRBlocks: 1
; NumSGPRsForWavesPerEU: 30
; NumVGPRsForWavesPerEU: 26
; NamedBarCnt: 0
; Occupancy: 16
; WaveLimiterHint : 0
; COMPUTE_PGM_RSRC2:SCRATCH_EN: 0
; COMPUTE_PGM_RSRC2:USER_SGPR: 2
; COMPUTE_PGM_RSRC2:TRAP_HANDLER: 0
; COMPUTE_PGM_RSRC2:TGID_X_EN: 1
; COMPUTE_PGM_RSRC2:TGID_Y_EN: 0
; COMPUTE_PGM_RSRC2:TGID_Z_EN: 0
; COMPUTE_PGM_RSRC2:TIDIG_COMP_CNT: 0
	.text
	.p2alignl 7, 3214868480
	.fill 96, 4, 3214868480
	.section	.AMDGPU.gpr_maximums,"",@progbits
	.set amdgpu.max_num_vgpr, 0
	.set amdgpu.max_num_agpr, 0
	.set amdgpu.max_num_sgpr, 0
	.text
	.type	__hip_cuid_be3333a462cda09,@object ; @__hip_cuid_be3333a462cda09
	.section	.bss,"aw",@nobits
	.globl	__hip_cuid_be3333a462cda09
__hip_cuid_be3333a462cda09:
	.byte	0                               ; 0x0
	.size	__hip_cuid_be3333a462cda09, 1

	.ident	"AMD clang version 22.0.0git (https://github.com/RadeonOpenCompute/llvm-project roc-7.2.4 26084 f58b06dce1f9c15707c5f808fd002e18c2accf7e)"
	.section	".note.GNU-stack","",@progbits
	.addrsig
	.addrsig_sym __hip_cuid_be3333a462cda09
	.amdgpu_metadata
---
amdhsa.kernels:
  - .args:
      - .address_space:  global
        .offset:         0
        .size:           8
        .value_kind:     global_buffer
      - .offset:         8
        .size:           8
        .value_kind:     by_value
      - .offset:         16
        .size:           4
        .value_kind:     hidden_block_count_x
      - .offset:         20
        .size:           4
        .value_kind:     hidden_block_count_y
      - .offset:         24
        .size:           4
        .value_kind:     hidden_block_count_z
      - .offset:         28
        .size:           2
        .value_kind:     hidden_group_size_x
      - .offset:         30
        .size:           2
        .value_kind:     hidden_group_size_y
      - .offset:         32
        .size:           2
        .value_kind:     hidden_group_size_z
      - .offset:         34
        .size:           2
        .value_kind:     hidden_remainder_x
      - .offset:         36
        .size:           2
        .value_kind:     hidden_remainder_y
      - .offset:         38
        .size:           2
        .value_kind:     hidden_remainder_z
      - .offset:         56
        .size:           8
        .value_kind:     hidden_global_offset_x
      - .offset:         64
        .size:           8
        .value_kind:     hidden_global_offset_y
      - .offset:         72
        .size:           8
        .value_kind:     hidden_global_offset_z
      - .offset:         80
        .size:           2
        .value_kind:     hidden_grid_dims
    .group_segment_fixed_size: 0
    .kernarg_segment_align: 8
    .kernarg_segment_size: 272
    .language:       OpenCL C
    .language_version:
      - 2
      - 0
    .max_flat_workgroup_size: 1024
    .name:           _Z9initTablePyy
    .private_segment_fixed_size: 0
    .sgpr_count:     8
    .sgpr_spill_count: 0
    .symbol:         _Z9initTablePyy.kd
    .uniform_work_group_size: 1
    .uses_dynamic_stack: false
    .vgpr_count:     4
    .vgpr_spill_count: 0
    .wavefront_size: 32
  - .args:
      - .address_space:  global
        .offset:         0
        .size:           8
        .value_kind:     global_buffer
      - .offset:         8
        .size:           8
        .value_kind:     by_value
    .group_segment_fixed_size: 0
    .kernarg_segment_align: 8
    .kernarg_segment_size: 16
    .language:       OpenCL C
    .language_version:
      - 2
      - 0
    .max_flat_workgroup_size: 1024
    .name:           _Z6updatePyy
    .private_segment_fixed_size: 0
    .sgpr_count:     30
    .sgpr_spill_count: 0
    .symbol:         _Z6updatePyy.kd
    .uniform_work_group_size: 1
    .uses_dynamic_stack: false
    .vgpr_count:     26
    .vgpr_spill_count: 0
    .wavefront_size: 32
amdhsa.target:   amdgcn-amd-amdhsa--gfx1250
amdhsa.version:
  - 1
  - 2
...

	.end_amdgpu_metadata
